;; amdgpu-corpus repo=ROCm/rocFFT kind=compiled arch=gfx950 opt=O3
	.text
	.amdgcn_target "amdgcn-amd-amdhsa--gfx950"
	.amdhsa_code_object_version 6
	.protected	fft_rtc_fwd_len169_factors_13_13_wgs_156_tpt_13_half_op_CI_CI_sbrc_z_xy_aligned ; -- Begin function fft_rtc_fwd_len169_factors_13_13_wgs_156_tpt_13_half_op_CI_CI_sbrc_z_xy_aligned
	.globl	fft_rtc_fwd_len169_factors_13_13_wgs_156_tpt_13_half_op_CI_CI_sbrc_z_xy_aligned
	.p2align	8
	.type	fft_rtc_fwd_len169_factors_13_13_wgs_156_tpt_13_half_op_CI_CI_sbrc_z_xy_aligned,@function
fft_rtc_fwd_len169_factors_13_13_wgs_156_tpt_13_half_op_CI_CI_sbrc_z_xy_aligned: ; @fft_rtc_fwd_len169_factors_13_13_wgs_156_tpt_13_half_op_CI_CI_sbrc_z_xy_aligned
; %bb.0:
	s_load_dwordx8 s[4:11], s[0:1], 0x0
	s_waitcnt lgkmcnt(0)
	s_load_dwordx4 s[12:15], s[8:9], 0x8
	s_load_dwordx4 s[16:19], s[10:11], 0x0
	s_load_dword s23, s[10:11], 0x10
	s_nop 0
	s_load_dwordx2 s[8:9], s[0:1], 0x20
	s_waitcnt lgkmcnt(0)
	s_add_i32 s3, s12, -1
	s_mul_hi_u32 s3, s3, 0xaaaaaaab
	s_lshr_b32 s3, s3, 3
	s_add_i32 s20, s3, 1
	s_mul_i32 s21, s20, s14
	v_cvt_f32_u32_e32 v2, s21
	v_cvt_f32_u32_e32 v1, s20
	s_sub_i32 s19, 0, s21
	s_load_dwordx4 s[12:15], s[8:9], 0x0
	v_rcp_iflag_f32_e32 v2, v2
	v_rcp_iflag_f32_e32 v1, v1
	s_waitcnt lgkmcnt(0)
	s_load_dword s15, s[8:9], 0x10
	v_mul_f32_e32 v2, 0x4f7ffffe, v2
	v_cvt_u32_f32_e32 v2, v2
	v_mul_f32_e32 v1, 0x4f7ffffe, v1
	v_cvt_u32_f32_e32 v1, v1
	v_readfirstlane_b32 s24, v2
	s_mul_i32 s19, s19, s24
	s_mul_hi_u32 s19, s24, s19
	s_add_i32 s24, s24, s19
	s_mul_hi_u32 s19, s2, s24
	s_mul_i32 s24, s19, s21
	s_sub_i32 s24, s2, s24
	s_add_i32 s25, s19, 1
	s_sub_i32 s26, s24, s21
	s_cmp_ge_u32 s24, s21
	s_cselect_b32 s19, s25, s19
	s_cselect_b32 s24, s26, s24
	s_add_i32 s25, s19, 1
	s_cmp_ge_u32 s24, s21
	v_readfirstlane_b32 s22, v1
	s_cselect_b32 s19, s25, s19
	s_not_b32 s3, s3
	s_mul_i32 s3, s3, s22
	s_mul_i32 s21, s19, s21
	s_mul_hi_u32 s3, s22, s3
	s_sub_i32 s21, s2, s21
	s_add_i32 s3, s22, s3
	s_mul_hi_u32 s22, s21, s3
	s_mul_i32 s24, s22, s20
	s_sub_i32 s21, s21, s24
	s_add_i32 s24, s22, 1
	s_sub_i32 s25, s21, s20
	s_cmp_ge_u32 s21, s20
	s_cselect_b32 s22, s24, s22
	s_cselect_b32 s21, s25, s21
	s_add_i32 s24, s22, 1
	s_mul_hi_u32 s3, s2, s3
	s_cmp_ge_u32 s21, s20
	s_mul_i32 s3, s3, s20
	s_cselect_b32 s22, s24, s22
	s_sub_i32 s2, s2, s3
	s_sub_i32 s3, s2, s20
	s_cmp_ge_u32 s2, s20
	s_cselect_b32 s2, s3, s2
	s_sub_i32 s3, s2, s20
	s_cmp_ge_u32 s2, s20
	s_cselect_b32 s2, s3, s2
	s_mul_i32 s2, s2, 12
	s_mul_i32 s3, s22, s23
	;; [unrolled: 1-line block ×3, first 2 shown]
	s_add_i32 s20, s20, s3
	s_mul_i32 s3, s13, s2
	s_mul_hi_u32 s21, s12, s2
	s_add_i32 s3, s21, s3
	s_lshl_b64 s[6:7], s[6:7], 3
	s_add_u32 s10, s10, s6
	s_addc_u32 s11, s11, s7
	s_load_dwordx2 s[24:25], s[10:11], 0x0
	v_mul_u32_u24_e32 v1, 0x184, v0
	v_lshrrev_b32_e32 v1, 16, v1
	v_mul_lo_u16_e32 v2, 0xa9, v1
	v_sub_u16_e32 v3, v0, v2
	s_waitcnt lgkmcnt(0)
	s_mul_i32 s10, s25, s19
	s_mul_hi_u32 s11, s24, s19
	s_add_i32 s25, s11, s10
	s_add_u32 s26, s8, s6
	s_addc_u32 s27, s9, s7
	s_load_dwordx2 s[6:7], s[26:27], 0x0
	s_load_dwordx4 s[8:11], s[0:1], 0x58
	s_mul_i32 s24, s24, s19
	s_lshl_b64 s[24:25], s[24:25], 2
	s_mov_b32 s21, 0
	s_waitcnt lgkmcnt(0)
	s_mul_i32 s0, s7, s19
	s_mul_hi_u32 s1, s6, s19
	s_add_i32 s1, s1, s0
	v_mad_u64_u32 v[4:5], s[26:27], s16, v3, 0
	s_add_u32 s0, s8, s24
	v_mov_b32_e32 v2, v5
	s_addc_u32 s7, s9, s25
	s_lshl_b64 s[8:9], s[20:21], 2
	v_mad_u64_u32 v[2:3], s[26:27], s17, v3, v[2:3]
	s_add_u32 s8, s0, s8
	v_mov_b32_e32 v5, v2
	s_addc_u32 s9, s7, s9
	v_mul_lo_u32 v2, s18, v1
	v_mov_b32_e32 v3, 0
	v_lshl_add_u64 v[4:5], v[4:5], 2, s[8:9]
	v_add_u32_e32 v1, 0x9c, v0
	v_lshl_add_u64 v[4:5], v[2:3], 2, v[4:5]
	v_mul_u32_u24_e32 v2, 0x184, v1
	v_lshrrev_b32_e32 v10, 16, v2
	v_mul_lo_u16_e32 v2, 0xa9, v10
	v_sub_u16_e32 v1, v1, v2
	v_mad_u64_u32 v[6:7], s[24:25], s16, v1, 0
	v_mov_b32_e32 v2, v7
	v_mad_u64_u32 v[8:9], s[24:25], s17, v1, v[2:3]
	v_mov_b32_e32 v7, v8
	v_mul_lo_u32 v2, s18, v10
	v_lshl_add_u64 v[6:7], v[6:7], 2, s[8:9]
	v_add_u32_e32 v1, 0x138, v0
	v_lshl_add_u64 v[6:7], v[2:3], 2, v[6:7]
	v_mul_u32_u24_e32 v2, 0x184, v1
	v_lshrrev_b32_e32 v12, 16, v2
	v_mul_lo_u16_e32 v2, 0xa9, v12
	v_sub_u16_e32 v1, v1, v2
	v_mad_u64_u32 v[8:9], s[24:25], s16, v1, 0
	v_mov_b32_e32 v2, v9
	v_mad_u64_u32 v[10:11], s[24:25], s17, v1, v[2:3]
	v_mov_b32_e32 v9, v10
	v_mul_lo_u32 v2, s18, v12
	;; [unrolled: 12-line block ×7, first 2 shown]
	v_lshl_add_u64 v[18:19], v[18:19], 2, s[8:9]
	v_lshl_add_u64 v[18:19], v[2:3], 2, v[18:19]
	v_add_u32_e32 v2, 0x4e0, v0
	global_load_dword v1, v[4:5], off
	global_load_dword v20, v[6:7], off
	;; [unrolled: 1-line block ×8, first 2 shown]
	v_mul_u32_u24_e32 v4, 0xc1f, v2
	v_lshrrev_b32_e32 v8, 19, v4
	v_mul_lo_u16_e32 v4, 0xa9, v8
	v_sub_u16_e32 v6, v2, v4
	v_mad_u64_u32 v[4:5], s[24:25], s16, v6, 0
	v_mov_b32_e32 v2, v5
	v_mad_u64_u32 v[6:7], s[24:25], s17, v6, v[2:3]
	v_mov_b32_e32 v5, v6
	v_mul_lo_u32 v2, s18, v8
	v_lshl_add_u64 v[4:5], v[4:5], 2, s[8:9]
	v_lshl_add_u64 v[4:5], v[2:3], 2, v[4:5]
	v_add_u32_e32 v2, 0x57c, v0
	v_mul_u32_u24_e32 v6, 0xc1f, v2
	v_lshrrev_b32_e32 v10, 19, v6
	v_mul_lo_u16_e32 v6, 0xa9, v10
	v_sub_u16_e32 v8, v2, v6
	v_mad_u64_u32 v[6:7], s[24:25], s16, v8, 0
	v_mov_b32_e32 v2, v7
	v_mad_u64_u32 v[8:9], s[24:25], s17, v8, v[2:3]
	v_mov_b32_e32 v7, v8
	v_mul_lo_u32 v2, s18, v10
	v_lshl_add_u64 v[6:7], v[6:7], 2, s[8:9]
	v_lshl_add_u64 v[6:7], v[2:3], 2, v[6:7]
	v_add_u32_e32 v2, 0x618, v0
	;; [unrolled: 12-line block ×4, first 2 shown]
	v_mul_u32_u24_e32 v12, 0xc1f, v2
	v_lshrrev_b32_e32 v16, 19, v12
	v_mul_lo_u16_e32 v12, 0xa9, v16
	v_sub_u16_e32 v14, v2, v12
	v_mad_u64_u32 v[12:13], s[24:25], s16, v14, 0
	v_mov_b32_e32 v2, v13
	v_mad_u64_u32 v[14:15], s[16:17], s17, v14, v[2:3]
	v_mov_b32_e32 v13, v14
	v_mul_lo_u32 v2, s18, v16
	v_lshl_add_u64 v[12:13], v[12:13], 2, s[8:9]
	v_lshl_add_u64 v[12:13], v[2:3], 2, v[12:13]
	global_load_dword v2, v[4:5], off
	global_load_dword v14, v[6:7], off
	;; [unrolled: 1-line block ×5, first 2 shown]
	v_mul_u32_u24_e32 v4, 0x13b2, v0
	s_mov_b32 s0, 0xaaaaaaab
	v_add_u32_sdwa v5, s2, v4 dst_sel:DWORD dst_unused:UNUSED_PAD src0_sel:DWORD src1_sel:WORD_1
	v_mul_hi_u32 v6, v5, s0
	v_lshrrev_b32_e32 v6, 3, v6
	v_mul_lo_u32 v6, v6, 12
	v_sub_u32_e32 v5, v5, v6
	v_lshl_add_u32 v6, v0, 2, 0
	s_waitcnt vmcnt(11)
	ds_write2_b32 v6, v1, v20 offset1:156
	v_add_u32_e32 v1, 0x400, v6
	s_waitcnt vmcnt(9)
	ds_write2_b32 v1, v21, v22 offset0:56 offset1:212
	v_add_u32_e32 v1, 0x900, v6
	s_waitcnt vmcnt(7)
	ds_write2_b32 v1, v23, v24 offset0:48 offset1:204
	v_add_u32_e32 v1, 0xe00, v6
	s_waitcnt vmcnt(5)
	ds_write2_b32 v1, v25, v26 offset0:40 offset1:196
	v_add_u32_e32 v1, 0x1200, v6
	v_mul_u32_u24_e32 v5, 0xa9, v5
	s_movk_i32 s9, 0x3b15
	s_movk_i32 s8, 0x388b
	;; [unrolled: 1-line block ×3, first 2 shown]
	s_mov_b32 s16, 0xb5ac
	s_mov_b32 s17, 0xb9fd
	;; [unrolled: 1-line block ×3, first 2 shown]
	s_mul_i32 s2, s12, s2
	s_lshl_b64 s[2:3], s[2:3], 2
	s_mul_i32 s20, s22, s14
	s_mul_i32 s0, s6, s19
	s_waitcnt vmcnt(3)
	ds_write2_b32 v1, v2, v14 offset0:96 offset1:252
	v_add_u32_e32 v1, 0x1800, v6
	s_waitcnt vmcnt(1)
	ds_write2_b32 v1, v15, v16 offset0:24 offset1:180
	s_waitcnt vmcnt(0)
	ds_write_b32 v6, v17 offset:7488
	v_mov_b32_e32 v1, 13
	v_mul_lo_u16_sdwa v1, v4, v1 dst_sel:DWORD dst_unused:UNUSED_PAD src0_sel:WORD_1 src1_sel:DWORD
	v_sub_u16_e32 v16, v0, v1
	v_lshlrev_b32_e32 v1, 2, v5
	v_add_u32_e32 v17, 0, v1
	v_lshlrev_b32_e32 v4, 2, v16
	v_add_u32_e32 v2, v17, v4
	s_waitcnt lgkmcnt(0)
	s_barrier
	ds_read_b32 v18, v2
	v_add3_u32 v1, 0, v4, v1
	ds_read2_b32 v[8:9], v1 offset0:13 offset1:26
	ds_read2_b32 v[10:11], v1 offset0:39 offset1:52
	;; [unrolled: 1-line block ×6, first 2 shown]
	s_waitcnt lgkmcnt(0)
	s_barrier
	v_add_f16_e32 v19, v8, v18
	v_add_f16_sdwa v20, v8, v18 dst_sel:DWORD dst_unused:UNUSED_PAD src0_sel:WORD_1 src1_sel:WORD_1
	v_add_f16_e32 v19, v19, v9
	v_add_f16_sdwa v20, v20, v9 dst_sel:DWORD dst_unused:UNUSED_PAD src0_sel:DWORD src1_sel:WORD_1
	v_add_f16_e32 v19, v19, v10
	v_add_f16_sdwa v20, v20, v10 dst_sel:DWORD dst_unused:UNUSED_PAD src0_sel:DWORD src1_sel:WORD_1
	v_add_f16_e32 v19, v19, v11
	v_add_f16_sdwa v20, v20, v11 dst_sel:DWORD dst_unused:UNUSED_PAD src0_sel:DWORD src1_sel:WORD_1
	v_add_f16_e32 v19, v19, v4
	v_add_f16_sdwa v20, v20, v4 dst_sel:DWORD dst_unused:UNUSED_PAD src0_sel:DWORD src1_sel:WORD_1
	v_add_f16_e32 v19, v19, v5
	v_add_f16_sdwa v20, v20, v5 dst_sel:DWORD dst_unused:UNUSED_PAD src0_sel:DWORD src1_sel:WORD_1
	v_add_f16_e32 v19, v19, v6
	v_add_f16_sdwa v20, v20, v6 dst_sel:DWORD dst_unused:UNUSED_PAD src0_sel:DWORD src1_sel:WORD_1
	v_add_f16_e32 v19, v19, v7
	v_add_f16_sdwa v20, v20, v7 dst_sel:DWORD dst_unused:UNUSED_PAD src0_sel:DWORD src1_sel:WORD_1
	v_add_f16_e32 v19, v19, v12
	v_add_f16_sdwa v20, v20, v12 dst_sel:DWORD dst_unused:UNUSED_PAD src0_sel:DWORD src1_sel:WORD_1
	v_add_f16_e32 v19, v19, v13
	v_add_f16_sdwa v20, v20, v13 dst_sel:DWORD dst_unused:UNUSED_PAD src0_sel:DWORD src1_sel:WORD_1
	v_add_f16_e32 v19, v19, v14
	v_add_f16_sdwa v20, v20, v14 dst_sel:DWORD dst_unused:UNUSED_PAD src0_sel:DWORD src1_sel:WORD_1
	v_add_f16_e32 v19, v19, v15
	v_add_f16_sdwa v20, v20, v15 dst_sel:WORD_1 dst_unused:UNUSED_PAD src0_sel:DWORD src1_sel:WORD_1
	v_add_f16_sdwa v21, v15, v8 dst_sel:DWORD dst_unused:UNUSED_PAD src0_sel:WORD_1 src1_sel:WORD_1
	v_or_b32_e32 v19, v20, v19
	v_add_f16_e32 v20, v15, v8
	v_sub_f16_e32 v22, v8, v15
	v_sub_f16_sdwa v8, v8, v15 dst_sel:DWORD dst_unused:UNUSED_PAD src0_sel:WORD_1 src1_sel:WORD_1
	v_mul_f16_e32 v15, 0xb770, v8
	v_mul_f16_e32 v24, 0xb770, v22
	;; [unrolled: 1-line block ×12, first 2 shown]
	v_fma_f16 v23, v20, s9, -v15
	v_fma_f16 v25, v21, s9, v24
	v_fma_f16 v15, v20, s9, v15
	v_fma_f16 v24, v21, s9, -v24
	v_fma_f16 v27, v20, s8, -v26
	v_fma_f16 v29, v21, s8, v28
	v_fma_f16 v26, v20, s8, v26
	v_fma_f16 v28, v21, s8, -v28
	;; [unrolled: 4-line block ×6, first 2 shown]
	v_add_f16_e32 v23, v23, v18
	v_add_f16_sdwa v25, v25, v18 dst_sel:DWORD dst_unused:UNUSED_PAD src0_sel:DWORD src1_sel:WORD_1
	v_add_f16_e32 v15, v15, v18
	v_add_f16_sdwa v24, v24, v18 dst_sel:DWORD dst_unused:UNUSED_PAD src0_sel:DWORD src1_sel:WORD_1
	;; [unrolled: 2-line block ×12, first 2 shown]
	v_add_f16_e32 v20, v14, v9
	v_add_f16_sdwa v21, v14, v9 dst_sel:DWORD dst_unused:UNUSED_PAD src0_sel:WORD_1 src1_sel:WORD_1
	v_sub_f16_e32 v22, v9, v14
	v_sub_f16_sdwa v9, v9, v14 dst_sel:DWORD dst_unused:UNUSED_PAD src0_sel:WORD_1 src1_sel:WORD_1
	v_mul_f16_e32 v14, 0xba95, v9
	v_fma_f16 v44, v20, s8, -v14
	v_add_f16_e32 v23, v44, v23
	v_mul_f16_e32 v44, 0xba95, v22
	v_fma_f16 v14, v20, s8, v14
	v_add_f16_e32 v14, v14, v15
	v_fma_f16 v15, v21, s8, -v44
	v_add_f16_e32 v15, v15, v24
	v_mul_f16_e32 v24, 0xbb7b, v9
	v_fma_f16 v45, v21, s8, v44
	v_fma_f16 v44, v20, s16, -v24
	v_add_f16_e32 v27, v44, v27
	v_mul_f16_e32 v44, 0xbb7b, v22
	v_fma_f16 v24, v20, s16, v24
	v_add_f16_e32 v24, v24, v26
	v_fma_f16 v26, v21, s16, -v44
	v_add_f16_e32 v26, v26, v28
	v_mul_f16_e32 v28, 0xb3a8, v9
	v_add_f16_e32 v25, v45, v25
	v_fma_f16 v45, v21, s16, v44
	v_fma_f16 v44, v20, s18, -v28
	v_add_f16_e32 v31, v44, v31
	v_mul_f16_e32 v44, 0xb3a8, v22
	v_fma_f16 v28, v20, s18, v28
	v_add_f16_e32 v28, v28, v30
	v_fma_f16 v30, v21, s18, -v44
	v_add_f16_e32 v30, v30, v32
	v_mul_f16_e32 v32, 0x394e, v9
	v_add_f16_e32 v29, v45, v29
	;; [unrolled: 10-line block ×3, first 2 shown]
	v_fma_f16 v45, v21, s17, v44
	v_fma_f16 v44, v20, s7, -v36
	v_add_f16_e32 v39, v44, v39
	v_mul_f16_e32 v44, 0x3bf1, v22
	v_fma_f16 v36, v20, s7, v36
	v_add_f16_e32 v36, v36, v38
	v_fma_f16 v38, v21, s7, -v44
	v_mul_f16_e32 v9, 0x3770, v9
	v_add_f16_e32 v38, v38, v40
	v_fma_f16 v40, v20, s9, -v9
	v_mul_f16_e32 v22, 0x3770, v22
	v_fma_f16 v9, v20, s9, v9
	v_add_f16_e32 v8, v9, v8
	v_fma_f16 v9, v21, s9, -v22
	v_add_f16_e32 v37, v45, v37
	v_fma_f16 v45, v21, s7, v44
	v_add_f16_e32 v40, v40, v42
	v_fma_f16 v42, v21, s9, v22
	v_add_f16_e32 v9, v9, v18
	v_add_f16_e32 v18, v13, v10
	v_add_f16_sdwa v20, v13, v10 dst_sel:DWORD dst_unused:UNUSED_PAD src0_sel:WORD_1 src1_sel:WORD_1
	v_sub_f16_e32 v21, v10, v13
	v_sub_f16_sdwa v10, v10, v13 dst_sel:DWORD dst_unused:UNUSED_PAD src0_sel:WORD_1 src1_sel:WORD_1
	v_mul_f16_e32 v13, 0xbbf1, v10
	v_fma_f16 v22, v18, s7, -v13
	v_add_f16_e32 v22, v22, v23
	v_mul_f16_e32 v23, 0xbbf1, v21
	v_fma_f16 v13, v18, s7, v13
	v_add_f16_e32 v13, v13, v14
	v_fma_f16 v14, v20, s7, -v23
	v_add_f16_e32 v14, v14, v15
	v_mul_f16_e32 v15, 0xb3a8, v10
	v_add_f16_e32 v42, v42, v43
	v_fma_f16 v43, v20, s7, v23
	v_fma_f16 v23, v18, s18, -v15
	v_add_f16_e32 v23, v23, v27
	v_mul_f16_e32 v27, 0xb3a8, v21
	v_fma_f16 v15, v18, s18, v15
	v_add_f16_e32 v15, v15, v24
	v_fma_f16 v24, v20, s18, -v27
	v_add_f16_e32 v24, v24, v26
	v_mul_f16_e32 v26, 0x3b7b, v10
	v_add_f16_e32 v25, v43, v25
	v_fma_f16 v43, v20, s18, v27
	;; [unrolled: 10-line block ×4, first 2 shown]
	v_fma_f16 v35, v18, s8, -v34
	v_add_f16_e32 v35, v35, v39
	v_mul_f16_e32 v39, 0xba95, v21
	v_fma_f16 v34, v18, s8, v34
	v_add_f16_e32 v34, v34, v36
	v_fma_f16 v36, v20, s8, -v39
	v_mul_f16_e32 v10, 0xb94e, v10
	v_add_f16_e32 v36, v36, v38
	v_fma_f16 v38, v18, s17, -v10
	v_mul_f16_e32 v21, 0xb94e, v21
	v_fma_f16 v10, v18, s17, v10
	v_add_f16_e32 v8, v10, v8
	v_fma_f16 v10, v20, s17, -v21
	v_add_f16_e32 v37, v43, v37
	v_fma_f16 v43, v20, s8, v39
	v_fma_f16 v39, v20, s17, v21
	v_add_f16_e32 v9, v10, v9
	v_add_f16_e32 v10, v12, v11
	v_add_f16_sdwa v18, v12, v11 dst_sel:DWORD dst_unused:UNUSED_PAD src0_sel:WORD_1 src1_sel:WORD_1
	v_sub_f16_e32 v20, v11, v12
	v_sub_f16_sdwa v11, v11, v12 dst_sel:DWORD dst_unused:UNUSED_PAD src0_sel:WORD_1 src1_sel:WORD_1
	v_mul_f16_e32 v12, 0xbb7b, v11
	v_fma_f16 v21, v10, s16, -v12
	v_add_f16_e32 v21, v21, v22
	v_mul_f16_e32 v22, 0xbb7b, v20
	v_fma_f16 v12, v10, s16, v12
	v_add_f16_e32 v12, v12, v13
	v_fma_f16 v13, v18, s16, -v22
	v_add_f16_e32 v13, v13, v14
	v_mul_f16_e32 v14, 0x394e, v11
	v_add_f16_e32 v38, v38, v40
	v_fma_f16 v40, v18, s16, v22
	v_fma_f16 v22, v10, s17, -v14
	v_add_f16_e32 v22, v22, v23
	v_mul_f16_e32 v23, 0x394e, v20
	v_fma_f16 v14, v10, s17, v14
	v_add_f16_e32 v25, v40, v25
	v_fma_f16 v40, v18, s17, v23
	v_add_f16_e32 v14, v14, v15
	v_fma_f16 v15, v18, s17, -v23
	v_mul_f16_e32 v23, 0x3770, v11
	v_add_f16_e32 v15, v15, v24
	v_fma_f16 v24, v10, s9, -v23
	v_add_f16_e32 v24, v24, v27
	v_mul_f16_e32 v27, 0x3770, v20
	v_fma_f16 v23, v10, s9, v23
	v_add_f16_e32 v29, v40, v29
	v_fma_f16 v40, v18, s9, v27
	v_add_f16_e32 v23, v23, v26
	v_fma_f16 v26, v18, s9, -v27
	v_mul_f16_e32 v27, 0xbbf1, v11
	v_add_f16_e32 v26, v26, v28
	;; [unrolled: 10-line block ×3, first 2 shown]
	v_fma_f16 v32, v10, s18, -v31
	v_add_f16_e32 v32, v32, v35
	v_mul_f16_e32 v35, 0x33a8, v20
	v_fma_f16 v31, v10, s18, v31
	v_mul_f16_e32 v11, 0x3a95, v11
	v_add_f16_e32 v37, v40, v37
	v_fma_f16 v40, v18, s18, v35
	v_add_f16_e32 v31, v31, v34
	v_fma_f16 v34, v18, s18, -v35
	v_fma_f16 v35, v10, s8, -v11
	v_mul_f16_e32 v20, 0x3a95, v20
	v_fma_f16 v10, v10, s8, v11
	v_add_f16_e32 v8, v10, v8
	v_fma_f16 v10, v18, s8, -v20
	v_add_f16_e32 v34, v34, v36
	v_fma_f16 v36, v18, s8, v20
	v_add_f16_e32 v9, v10, v9
	v_add_f16_e32 v10, v7, v4
	v_add_f16_sdwa v11, v7, v4 dst_sel:DWORD dst_unused:UNUSED_PAD src0_sel:WORD_1 src1_sel:WORD_1
	v_sub_f16_e32 v18, v4, v7
	v_sub_f16_sdwa v4, v4, v7 dst_sel:DWORD dst_unused:UNUSED_PAD src0_sel:WORD_1 src1_sel:WORD_1
	v_mul_f16_e32 v7, 0xb94e, v4
	v_fma_f16 v20, v10, s17, -v7
	v_add_f16_e32 v20, v20, v21
	v_mul_f16_e32 v21, 0xb94e, v18
	v_fma_f16 v7, v10, s17, v7
	v_add_f16_e32 v7, v7, v12
	v_fma_f16 v12, v11, s17, -v21
	v_add_f16_e32 v12, v12, v13
	v_mul_f16_e32 v13, 0x3bf1, v4
	v_add_f16_e32 v35, v35, v38
	v_fma_f16 v38, v11, s17, v21
	v_fma_f16 v21, v10, s7, -v13
	v_add_f16_e32 v21, v21, v22
	v_mul_f16_e32 v22, 0x3bf1, v18
	v_fma_f16 v13, v10, s7, v13
	v_add_f16_e32 v13, v13, v14
	v_fma_f16 v14, v11, s7, -v22
	v_add_f16_e32 v14, v14, v15
	v_mul_f16_e32 v15, 0xba95, v4
	v_add_f16_e32 v25, v38, v25
	v_fma_f16 v38, v11, s7, v22
	v_fma_f16 v22, v10, s8, -v15
	v_add_f16_e32 v22, v22, v24
	v_mul_f16_e32 v24, 0xba95, v18
	v_fma_f16 v15, v10, s8, v15
	v_add_f16_e32 v29, v38, v29
	v_fma_f16 v38, v11, s8, v24
	v_add_f16_e32 v15, v15, v23
	v_fma_f16 v23, v11, s8, -v24
	v_mul_f16_e32 v24, 0x33a8, v4
	v_add_f16_e32 v23, v23, v26
	v_fma_f16 v26, v10, s18, -v24
	v_add_f16_e32 v26, v26, v28
	v_mul_f16_e32 v28, 0x33a8, v18
	v_fma_f16 v24, v10, s18, v24
	v_add_f16_e32 v33, v38, v33
	v_fma_f16 v38, v11, s18, v28
	v_add_f16_e32 v24, v24, v27
	v_fma_f16 v27, v11, s18, -v28
	v_mul_f16_e32 v28, 0x3770, v4
	v_add_f16_e32 v27, v27, v30
	v_fma_f16 v30, v10, s9, -v28
	v_add_f16_e32 v30, v30, v32
	v_mul_f16_e32 v32, 0x3770, v18
	v_fma_f16 v28, v10, s9, v28
	v_mul_f16_e32 v4, 0xbb7b, v4
	v_add_f16_e32 v37, v38, v37
	v_fma_f16 v38, v11, s9, v32
	v_add_f16_e32 v28, v28, v31
	v_fma_f16 v31, v11, s9, -v32
	v_fma_f16 v32, v10, s16, -v4
	v_mul_f16_e32 v18, 0xbb7b, v18
	v_fma_f16 v4, v10, s16, v4
	v_add_f16_e32 v4, v4, v8
	v_fma_f16 v8, v11, s16, -v18
	v_add_f16_e32 v31, v31, v34
	v_fma_f16 v34, v11, s16, v18
	v_add_f16_e32 v8, v8, v9
	v_add_f16_e32 v9, v6, v5
	v_add_f16_sdwa v10, v6, v5 dst_sel:DWORD dst_unused:UNUSED_PAD src0_sel:WORD_1 src1_sel:WORD_1
	v_sub_f16_e32 v11, v5, v6
	v_sub_f16_sdwa v5, v5, v6 dst_sel:DWORD dst_unused:UNUSED_PAD src0_sel:WORD_1 src1_sel:WORD_1
	v_mul_f16_e32 v6, 0xb3a8, v5
	v_fma_f16 v18, v9, s18, -v6
	v_add_f16_e32 v18, v18, v20
	v_mul_f16_e32 v20, 0xb3a8, v11
	v_fma_f16 v6, v9, s18, v6
	v_add_f16_e32 v6, v6, v7
	v_fma_f16 v7, v10, s18, -v20
	v_add_f16_e32 v7, v7, v12
	v_mul_f16_e32 v12, 0x3770, v5
	v_add_f16_e32 v32, v32, v35
	v_fma_f16 v35, v10, s18, v20
	v_fma_f16 v20, v9, s9, -v12
	v_add_f16_e32 v20, v20, v21
	v_mul_f16_e32 v21, 0x3770, v11
	v_fma_f16 v12, v9, s9, v12
	v_add_f16_e32 v12, v12, v13
	v_fma_f16 v13, v10, s9, -v21
	v_add_f16_e32 v13, v13, v14
	v_mul_f16_e32 v14, 0xb94e, v5
	v_add_f16_e32 v25, v35, v25
	v_fma_f16 v35, v10, s9, v21
	v_fma_f16 v21, v9, s17, -v14
	v_add_f16_e32 v21, v21, v22
	v_mul_f16_e32 v22, 0xb94e, v11
	v_fma_f16 v14, v9, s17, v14
	v_add_f16_e32 v29, v35, v29
	v_fma_f16 v35, v10, s17, v22
	v_add_f16_e32 v14, v14, v15
	v_fma_f16 v15, v10, s17, -v22
	v_mul_f16_e32 v22, 0x3a95, v5
	v_add_f16_e32 v15, v15, v23
	v_fma_f16 v23, v9, s8, -v22
	v_add_f16_e32 v23, v23, v26
	v_mul_f16_e32 v26, 0x3a95, v11
	v_fma_f16 v22, v9, s8, v22
	v_add_f16_e32 v33, v35, v33
	v_fma_f16 v35, v10, s8, v26
	v_add_f16_e32 v22, v22, v24
	v_fma_f16 v24, v10, s8, -v26
	v_mul_f16_e32 v26, 0xbb7b, v5
	v_add_f16_e32 v39, v39, v42
	v_add_f16_e32 v24, v24, v27
	v_fma_f16 v27, v9, s16, -v26
	v_add_f16_e32 v41, v45, v41
	v_add_f16_e32 v36, v36, v39
	;; [unrolled: 1-line block ×3, first 2 shown]
	v_mul_f16_e32 v30, 0xbb7b, v11
	v_fma_f16 v26, v9, s16, v26
	v_mul_f16_e32 v5, 0x3bf1, v5
	v_add_f16_e32 v41, v43, v41
	v_add_f16_e32 v34, v34, v36
	v_fma_f16 v36, v10, s16, v30
	v_add_f16_e32 v26, v26, v28
	v_fma_f16 v28, v10, s16, -v30
	v_fma_f16 v30, v9, s7, -v5
	v_mul_f16_e32 v11, 0x3bf1, v11
	v_fma_f16 v5, v9, s7, v5
	v_add_f16_e32 v40, v40, v41
	v_add_f16_e32 v4, v5, v4
	v_fma_f16 v5, v10, s7, -v11
	v_add_f16_e32 v38, v38, v40
	v_add_f16_e32 v35, v35, v37
	;; [unrolled: 1-line block ×3, first 2 shown]
	v_fma_f16 v31, v10, s7, v11
	v_add_f16_e32 v5, v5, v8
	v_mad_u32_u24 v8, v16, 52, v17
	v_pack_b32_f16 v9, v20, v29
	v_pack_b32_f16 v10, v18, v25
	v_add_f16_e32 v36, v36, v38
	v_add_f16_e32 v30, v30, v32
	;; [unrolled: 1-line block ×3, first 2 shown]
	ds_write2_b32 v8, v10, v9 offset0:1 offset1:2
	v_pack_b32_f16 v9, v23, v35
	v_pack_b32_f16 v10, v21, v33
	ds_write2_b32 v8, v10, v9 offset0:3 offset1:4
	v_pack_b32_f16 v9, v30, v31
	v_pack_b32_f16 v10, v27, v36
	;; [unrolled: 3-line block ×5, first 2 shown]
	ds_write2_b32 v8, v5, v4 offset0:11 offset1:12
	v_mul_u32_u24_e32 v4, 12, v16
	v_lshlrev_b32_e32 v16, 2, v4
	ds_write_b32 v8, v19
	s_waitcnt lgkmcnt(0)
	s_barrier
	global_load_dwordx4 v[4:7], v16, s[4:5]
	global_load_dwordx4 v[8:11], v16, s[4:5] offset:16
	global_load_dwordx4 v[12:15], v16, s[4:5] offset:32
	ds_read2_b32 v[16:17], v1 offset0:13 offset1:26
	ds_read2_b32 v[18:19], v1 offset0:65 offset1:78
	;; [unrolled: 1-line block ×3, first 2 shown]
	ds_read_b32 v2, v2
	ds_read_u16 v28, v1 offset:210
	ds_read2_b32 v[22:23], v1 offset0:91 offset1:104
	s_waitcnt lgkmcnt(5)
	v_lshrrev_b32_e32 v37, 16, v16
	s_waitcnt lgkmcnt(4)
	v_lshrrev_b32_e32 v29, 16, v18
	ds_read2_b32 v[24:25], v1 offset0:117 offset1:130
	v_lshrrev_b32_e32 v30, 16, v19
	ds_read2_b32 v[26:27], v1 offset0:143 offset1:156
	s_waitcnt lgkmcnt(2)
	v_lshrrev_b32_e32 v31, 16, v22
	v_lshrrev_b32_e32 v32, 16, v23
	s_waitcnt lgkmcnt(1)
	v_lshrrev_b32_e32 v33, 16, v24
	v_lshrrev_b32_e32 v34, 16, v25
	;; [unrolled: 3-line block ×3, first 2 shown]
	s_barrier
	s_waitcnt vmcnt(2)
	v_mul_f16_sdwa v38, v4, v37 dst_sel:DWORD dst_unused:UNUSED_PAD src0_sel:WORD_1 src1_sel:DWORD
	v_fma_f16 v38, v4, v16, -v38
	v_mul_f16_sdwa v16, v4, v16 dst_sel:DWORD dst_unused:UNUSED_PAD src0_sel:WORD_1 src1_sel:DWORD
	v_fma_f16 v4, v4, v37, v16
	v_lshrrev_b32_e32 v16, 16, v17
	v_mul_f16_sdwa v37, v5, v16 dst_sel:DWORD dst_unused:UNUSED_PAD src0_sel:WORD_1 src1_sel:DWORD
	v_fma_f16 v37, v5, v17, -v37
	v_mul_f16_sdwa v17, v5, v17 dst_sel:DWORD dst_unused:UNUSED_PAD src0_sel:WORD_1 src1_sel:DWORD
	v_fma_f16 v5, v5, v16, v17
	v_lshrrev_b32_e32 v16, 16, v20
	v_mul_f16_sdwa v17, v6, v16 dst_sel:DWORD dst_unused:UNUSED_PAD src0_sel:WORD_1 src1_sel:DWORD
	v_fma_f16 v17, v6, v20, -v17
	v_mul_f16_sdwa v20, v6, v20 dst_sel:DWORD dst_unused:UNUSED_PAD src0_sel:WORD_1 src1_sel:DWORD
	v_fma_f16 v6, v6, v16, v20
	v_mul_f16_sdwa v16, v28, v7 dst_sel:DWORD dst_unused:UNUSED_PAD src0_sel:DWORD src1_sel:WORD_1
	v_mul_f16_sdwa v20, v7, v21 dst_sel:DWORD dst_unused:UNUSED_PAD src0_sel:WORD_1 src1_sel:DWORD
	v_fma_f16 v16, v7, v21, -v16
	v_fma_f16 v7, v28, v7, v20
	s_waitcnt vmcnt(1)
	v_mul_f16_sdwa v20, v29, v8 dst_sel:DWORD dst_unused:UNUSED_PAD src0_sel:DWORD src1_sel:WORD_1
	v_fma_f16 v20, v18, v8, -v20
	v_mul_f16_sdwa v18, v18, v8 dst_sel:DWORD dst_unused:UNUSED_PAD src0_sel:DWORD src1_sel:WORD_1
	v_fma_f16 v8, v29, v8, v18
	v_mul_f16_sdwa v18, v30, v9 dst_sel:DWORD dst_unused:UNUSED_PAD src0_sel:DWORD src1_sel:WORD_1
	v_fma_f16 v18, v19, v9, -v18
	v_mul_f16_sdwa v19, v19, v9 dst_sel:DWORD dst_unused:UNUSED_PAD src0_sel:DWORD src1_sel:WORD_1
	v_fma_f16 v9, v30, v9, v19
	v_mul_f16_sdwa v19, v31, v10 dst_sel:DWORD dst_unused:UNUSED_PAD src0_sel:DWORD src1_sel:WORD_1
	v_mul_f16_sdwa v21, v22, v10 dst_sel:DWORD dst_unused:UNUSED_PAD src0_sel:DWORD src1_sel:WORD_1
	v_fma_f16 v19, v22, v10, -v19
	v_fma_f16 v10, v31, v10, v21
	v_mul_f16_sdwa v21, v32, v11 dst_sel:DWORD dst_unused:UNUSED_PAD src0_sel:DWORD src1_sel:WORD_1
	v_mul_f16_sdwa v22, v23, v11 dst_sel:DWORD dst_unused:UNUSED_PAD src0_sel:DWORD src1_sel:WORD_1
	v_fma_f16 v21, v23, v11, -v21
	v_fma_f16 v11, v32, v11, v22
	s_waitcnt vmcnt(0)
	v_mul_f16_sdwa v22, v33, v12 dst_sel:DWORD dst_unused:UNUSED_PAD src0_sel:DWORD src1_sel:WORD_1
	v_mul_f16_sdwa v23, v24, v12 dst_sel:DWORD dst_unused:UNUSED_PAD src0_sel:DWORD src1_sel:WORD_1
	v_fma_f16 v22, v24, v12, -v22
	v_fma_f16 v12, v33, v12, v23
	v_mul_f16_sdwa v23, v34, v13 dst_sel:DWORD dst_unused:UNUSED_PAD src0_sel:DWORD src1_sel:WORD_1
	v_mul_f16_sdwa v24, v25, v13 dst_sel:DWORD dst_unused:UNUSED_PAD src0_sel:DWORD src1_sel:WORD_1
	v_fma_f16 v23, v25, v13, -v23
	v_fma_f16 v13, v34, v13, v24
	;; [unrolled: 4-line block ×4, first 2 shown]
	v_add_f16_e32 v26, v38, v2
	v_add_f16_sdwa v27, v4, v2 dst_sel:DWORD dst_unused:UNUSED_PAD src0_sel:DWORD src1_sel:WORD_1
	v_add_f16_e32 v26, v26, v37
	v_add_f16_e32 v27, v27, v5
	;; [unrolled: 1-line block ×21, first 2 shown]
	v_add_f16_sdwa v27, v27, v15 dst_sel:WORD_1 dst_unused:UNUSED_PAD src0_sel:DWORD src1_sel:DWORD
	v_add_f16_e32 v28, v4, v15
	v_or_b32_e32 v26, v27, v26
	v_add_f16_e32 v27, v38, v25
	v_sub_f16_e32 v25, v38, v25
	v_sub_f16_e32 v4, v4, v15
	v_mul_f16_e32 v15, 0xb770, v4
	v_mul_f16_e32 v30, 0xb770, v25
	;; [unrolled: 1-line block ×12, first 2 shown]
	v_fma_f16 v29, v27, s9, -v15
	v_fma_f16 v31, v28, s9, v30
	v_fma_f16 v15, v27, s9, v15
	v_fma_f16 v30, v28, s9, -v30
	v_fma_f16 v33, v27, s8, -v32
	v_fma_f16 v35, v28, s8, v34
	v_fma_f16 v32, v27, s8, v32
	v_fma_f16 v34, v28, s8, -v34
	;; [unrolled: 4-line block ×6, first 2 shown]
	v_add_f16_e32 v27, v5, v14
	v_sub_f16_e32 v5, v5, v14
	v_add_f16_e32 v29, v29, v2
	v_add_f16_sdwa v31, v31, v2 dst_sel:DWORD dst_unused:UNUSED_PAD src0_sel:DWORD src1_sel:WORD_1
	v_add_f16_e32 v15, v15, v2
	v_add_f16_sdwa v30, v30, v2 dst_sel:DWORD dst_unused:UNUSED_PAD src0_sel:DWORD src1_sel:WORD_1
	;; [unrolled: 2-line block ×12, first 2 shown]
	v_add_f16_e32 v25, v37, v24
	v_mul_f16_e32 v14, 0xba95, v5
	v_sub_f16_e32 v24, v37, v24
	v_fma_f16 v28, v25, s8, -v14
	v_add_f16_e32 v28, v28, v29
	v_mul_f16_e32 v29, 0xba95, v24
	v_fma_f16 v14, v25, s8, v14
	v_fma_f16 v37, v27, s8, v29
	v_add_f16_e32 v14, v14, v15
	v_fma_f16 v15, v27, s8, -v29
	v_mul_f16_e32 v29, 0xbb7b, v5
	v_add_f16_e32 v15, v15, v30
	v_fma_f16 v30, v25, s16, -v29
	v_add_f16_e32 v30, v30, v33
	v_mul_f16_e32 v33, 0xbb7b, v24
	v_fma_f16 v29, v25, s16, v29
	v_add_f16_e32 v31, v37, v31
	v_fma_f16 v37, v27, s16, v33
	v_add_f16_e32 v29, v29, v32
	v_fma_f16 v32, v27, s16, -v33
	v_mul_f16_e32 v33, 0xb3a8, v5
	v_add_f16_e32 v35, v37, v35
	v_add_f16_e32 v32, v32, v34
	v_fma_f16 v34, v25, s18, -v33
	v_mul_f16_e32 v37, 0xb3a8, v24
	v_fma_f16 v33, v25, s18, v33
	v_add_f16_e32 v34, v34, v38
	v_fma_f16 v38, v27, s18, v37
	v_add_f16_e32 v33, v33, v36
	v_fma_f16 v36, v27, s18, -v37
	v_mul_f16_e32 v37, 0x394e, v5
	v_add_f16_e32 v38, v38, v40
	v_add_f16_e32 v36, v36, v39
	v_fma_f16 v39, v25, s17, -v37
	v_mul_f16_e32 v40, 0x394e, v24
	v_fma_f16 v37, v25, s17, v37
	v_add_f16_e32 v39, v39, v42
	v_fma_f16 v42, v27, s17, v40
	v_add_f16_e32 v37, v37, v41
	v_fma_f16 v40, v27, s17, -v40
	v_mul_f16_e32 v41, 0x3bf1, v5
	v_add_f16_e32 v42, v42, v44
	v_add_f16_e32 v40, v40, v43
	v_fma_f16 v43, v25, s7, -v41
	v_mul_f16_e32 v44, 0x3bf1, v24
	v_fma_f16 v41, v25, s7, v41
	v_mul_f16_e32 v5, 0x3770, v5
	v_add_f16_e32 v43, v43, v46
	v_fma_f16 v46, v27, s7, v44
	v_add_f16_e32 v41, v41, v45
	v_fma_f16 v44, v27, s7, -v44
	v_fma_f16 v45, v25, s9, -v5
	v_mul_f16_e32 v24, 0x3770, v24
	v_fma_f16 v5, v25, s9, v5
	v_add_f16_e32 v44, v44, v47
	v_fma_f16 v47, v27, s9, v24
	v_add_f16_e32 v4, v5, v4
	v_fma_f16 v5, v27, s9, -v24
	v_add_f16_e32 v24, v6, v13
	v_sub_f16_e32 v6, v6, v13
	v_add_f16_e32 v2, v5, v2
	v_add_f16_e32 v5, v17, v23
	v_sub_f16_e32 v17, v17, v23
	v_mul_f16_e32 v13, 0xbbf1, v6
	v_fma_f16 v23, v5, s7, -v13
	v_mul_f16_e32 v25, 0xbbf1, v17
	v_fma_f16 v13, v5, s7, v13
	v_add_f16_e32 v13, v13, v14
	v_fma_f16 v14, v24, s7, -v25
	v_add_f16_e32 v14, v14, v15
	v_mul_f16_e32 v15, 0xb3a8, v6
	v_fma_f16 v27, v24, s7, v25
	v_fma_f16 v25, v5, s18, -v15
	v_fma_f16 v15, v5, s18, v15
	v_add_f16_e32 v23, v23, v28
	v_mul_f16_e32 v28, 0xb3a8, v17
	v_add_f16_e32 v15, v15, v29
	v_mul_f16_e32 v29, 0x3b7b, v6
	v_add_f16_e32 v27, v27, v31
	v_add_f16_e32 v25, v25, v30
	v_fma_f16 v30, v24, s18, v28
	v_fma_f16 v28, v24, s18, -v28
	v_fma_f16 v31, v5, s16, -v29
	v_fma_f16 v29, v5, s16, v29
	v_add_f16_e32 v28, v28, v32
	v_mul_f16_e32 v32, 0x3b7b, v17
	v_add_f16_e32 v29, v29, v33
	v_mul_f16_e32 v33, 0x3770, v6
	v_add_f16_e32 v30, v30, v35
	v_add_f16_e32 v31, v31, v34
	v_fma_f16 v34, v24, s16, v32
	v_fma_f16 v32, v24, s16, -v32
	;; [unrolled: 10-line block ×3, first 2 shown]
	v_fma_f16 v39, v5, s8, -v37
	v_fma_f16 v37, v5, s8, v37
	v_mul_f16_e32 v6, 0xb94e, v6
	v_add_f16_e32 v36, v36, v40
	v_mul_f16_e32 v40, 0xba95, v17
	v_add_f16_e32 v37, v37, v41
	v_fma_f16 v41, v5, s17, -v6
	v_mul_f16_e32 v17, 0xb94e, v17
	v_fma_f16 v5, v5, s17, v6
	v_add_f16_e32 v4, v5, v4
	v_fma_f16 v5, v24, s17, -v17
	v_add_f16_e32 v6, v7, v12
	v_sub_f16_e32 v7, v7, v12
	v_add_f16_e32 v2, v5, v2
	v_add_f16_e32 v5, v16, v22
	v_sub_f16_e32 v16, v16, v22
	v_mul_f16_e32 v12, 0xbb7b, v7
	v_add_f16_e32 v39, v39, v43
	v_fma_f16 v43, v24, s17, v17
	v_fma_f16 v17, v5, s16, -v12
	v_mul_f16_e32 v22, 0xbb7b, v16
	v_fma_f16 v12, v5, s16, v12
	v_add_f16_e32 v12, v12, v13
	v_fma_f16 v13, v6, s16, -v22
	v_add_f16_e32 v13, v13, v14
	v_mul_f16_e32 v14, 0x394e, v7
	v_add_f16_e32 v38, v38, v42
	v_fma_f16 v42, v24, s8, v40
	v_fma_f16 v40, v24, s8, -v40
	v_add_f16_e32 v17, v17, v23
	v_fma_f16 v23, v6, s16, v22
	v_fma_f16 v22, v5, s17, -v14
	v_mul_f16_e32 v24, 0x394e, v16
	v_fma_f16 v14, v5, s17, v14
	v_add_f16_e32 v22, v22, v25
	v_fma_f16 v25, v6, s17, v24
	v_add_f16_e32 v14, v14, v15
	v_fma_f16 v15, v6, s17, -v24
	v_mul_f16_e32 v24, 0x3770, v7
	v_add_f16_e32 v23, v23, v27
	v_fma_f16 v27, v5, s9, -v24
	v_fma_f16 v24, v5, s9, v24
	v_add_f16_e32 v15, v15, v28
	v_mul_f16_e32 v28, 0x3770, v16
	v_add_f16_e32 v24, v24, v29
	v_mul_f16_e32 v29, 0xbbf1, v7
	v_add_f16_e32 v25, v25, v30
	v_add_f16_e32 v27, v27, v31
	v_fma_f16 v30, v6, s9, v28
	v_fma_f16 v28, v6, s9, -v28
	v_fma_f16 v31, v5, s7, -v29
	v_fma_f16 v29, v5, s7, v29
	v_add_f16_e32 v28, v28, v32
	v_mul_f16_e32 v32, 0xbbf1, v16
	v_add_f16_e32 v29, v29, v33
	v_mul_f16_e32 v33, 0x33a8, v7
	v_add_f16_e32 v30, v30, v34
	v_add_f16_e32 v31, v31, v35
	v_fma_f16 v34, v6, s7, v32
	v_fma_f16 v32, v6, s7, -v32
	v_fma_f16 v35, v5, s18, -v33
	v_fma_f16 v33, v5, s18, v33
	v_mul_f16_e32 v7, 0x3a95, v7
	v_add_f16_e32 v32, v32, v36
	v_mul_f16_e32 v36, 0x33a8, v16
	v_add_f16_e32 v33, v33, v37
	v_fma_f16 v37, v5, s8, -v7
	v_mul_f16_e32 v16, 0x3a95, v16
	v_fma_f16 v5, v5, s8, v7
	v_add_f16_e32 v34, v34, v38
	v_add_f16_e32 v35, v35, v39
	v_fma_f16 v38, v6, s18, v36
	v_fma_f16 v36, v6, s18, -v36
	v_fma_f16 v39, v6, s8, v16
	v_add_f16_e32 v4, v5, v4
	v_fma_f16 v5, v6, s8, -v16
	v_add_f16_e32 v6, v8, v11
	v_sub_f16_e32 v8, v8, v11
	v_add_f16_e32 v2, v5, v2
	v_add_f16_e32 v5, v20, v21
	v_mul_f16_e32 v11, 0xb94e, v8
	v_sub_f16_e32 v7, v20, v21
	v_fma_f16 v16, v5, s17, -v11
	v_add_f16_e32 v16, v16, v17
	v_mul_f16_e32 v17, 0xb94e, v7
	v_fma_f16 v11, v5, s17, v11
	v_add_f16_e32 v11, v11, v12
	v_fma_f16 v12, v6, s17, -v17
	v_add_f16_e32 v12, v12, v13
	v_mul_f16_e32 v13, 0x3bf1, v8
	v_fma_f16 v20, v6, s17, v17
	v_fma_f16 v17, v5, s7, -v13
	v_mul_f16_e32 v21, 0x3bf1, v7
	v_fma_f16 v13, v5, s7, v13
	v_add_f16_e32 v13, v13, v14
	v_fma_f16 v14, v6, s7, -v21
	v_add_f16_e32 v14, v14, v15
	v_mul_f16_e32 v15, 0xba95, v8
	v_add_f16_e32 v17, v17, v22
	v_fma_f16 v22, v6, s7, v21
	v_fma_f16 v21, v5, s8, -v15
	v_fma_f16 v15, v5, s8, v15
	v_add_f16_e32 v20, v20, v23
	v_mul_f16_e32 v23, 0xba95, v7
	v_add_f16_e32 v15, v15, v24
	v_mul_f16_e32 v24, 0x33a8, v8
	v_add_f16_e32 v22, v22, v25
	v_add_f16_e32 v21, v21, v27
	v_fma_f16 v25, v6, s8, v23
	v_fma_f16 v23, v6, s8, -v23
	v_fma_f16 v27, v5, s18, -v24
	v_fma_f16 v24, v5, s18, v24
	v_add_f16_e32 v23, v23, v28
	v_mul_f16_e32 v28, 0x33a8, v7
	v_add_f16_e32 v24, v24, v29
	v_mul_f16_e32 v29, 0x3770, v8
	v_add_f16_e32 v25, v25, v30
	v_add_f16_e32 v27, v27, v31
	v_fma_f16 v30, v6, s18, v28
	v_fma_f16 v28, v6, s18, -v28
	v_fma_f16 v31, v5, s9, -v29
	v_fma_f16 v29, v5, s9, v29
	v_mul_f16_e32 v8, 0xbb7b, v8
	v_add_f16_e32 v28, v28, v32
	v_mul_f16_e32 v32, 0x3770, v7
	v_add_f16_e32 v29, v29, v33
	v_fma_f16 v33, v5, s16, -v8
	v_mul_f16_e32 v7, 0xbb7b, v7
	v_fma_f16 v5, v5, s16, v8
	v_add_f16_e32 v4, v5, v4
	v_fma_f16 v5, v6, s16, -v7
	v_sub_f16_e32 v8, v9, v10
	v_add_f16_e32 v30, v30, v34
	v_add_f16_e32 v31, v31, v35
	v_fma_f16 v34, v6, s9, v32
	v_fma_f16 v32, v6, s9, -v32
	v_fma_f16 v35, v6, s16, v7
	v_add_f16_e32 v2, v5, v2
	v_add_f16_e32 v5, v18, v19
	v_add_f16_e32 v6, v9, v10
	v_mul_f16_e32 v9, 0xb3a8, v8
	v_sub_f16_e32 v7, v18, v19
	v_fma_f16 v10, v5, s18, -v9
	v_add_f16_e32 v10, v10, v16
	v_mul_f16_e32 v16, 0xb3a8, v7
	v_fma_f16 v9, v5, s18, v9
	v_add_f16_e32 v9, v9, v11
	v_fma_f16 v11, v6, s18, -v16
	v_add_f16_e32 v11, v11, v12
	v_mul_f16_e32 v12, 0x3770, v8
	v_fma_f16 v18, v6, s18, v16
	v_fma_f16 v16, v5, s9, -v12
	v_add_f16_e32 v16, v16, v17
	v_mul_f16_e32 v17, 0x3770, v7
	v_fma_f16 v12, v5, s9, v12
	v_add_f16_e32 v12, v12, v13
	v_fma_f16 v13, v6, s9, -v17
	v_add_f16_e32 v13, v13, v14
	v_mul_f16_e32 v14, 0xb94e, v8
	v_add_f16_e32 v18, v18, v20
	v_fma_f16 v19, v6, s9, v17
	v_fma_f16 v17, v5, s17, -v14
	v_mul_f16_e32 v20, 0xb94e, v7
	v_fma_f16 v14, v5, s17, v14
	v_add_f16_e32 v17, v17, v21
	v_fma_f16 v21, v6, s17, v20
	v_add_f16_e32 v14, v14, v15
	v_fma_f16 v15, v6, s17, -v20
	v_mul_f16_e32 v20, 0x3a95, v8
	v_add_f16_e32 v19, v19, v22
	v_fma_f16 v22, v5, s8, -v20
	v_fma_f16 v20, v5, s8, v20
	v_add_f16_e32 v15, v15, v23
	v_mul_f16_e32 v23, 0x3a95, v7
	v_add_f16_e32 v20, v20, v24
	v_mul_f16_e32 v24, 0xbb7b, v8
	v_add_f16_e32 v46, v46, v48
	v_add_f16_e32 v21, v21, v25
	;; [unrolled: 1-line block ×3, first 2 shown]
	v_fma_f16 v25, v6, s8, v23
	v_fma_f16 v23, v6, s8, -v23
	v_fma_f16 v27, v5, s16, -v24
	v_fma_f16 v24, v5, s16, v24
	v_mul_f16_e32 v8, 0x3bf1, v8
	v_add_f16_e32 v45, v45, v49
	v_add_f16_e32 v47, v47, v50
	;; [unrolled: 1-line block ×4, first 2 shown]
	v_mul_f16_e32 v28, 0xbb7b, v7
	v_add_f16_e32 v24, v24, v29
	v_fma_f16 v29, v5, s7, -v8
	v_mul_f16_e32 v7, 0x3bf1, v7
	v_fma_f16 v5, v5, s7, v8
	v_add_f16_e32 v41, v41, v45
	v_add_f16_e32 v43, v43, v47
	;; [unrolled: 1-line block ×4, first 2 shown]
	v_fma_f16 v5, v6, s7, -v7
	v_add_f16_e32 v40, v40, v44
	v_add_f16_e32 v37, v37, v41
	;; [unrolled: 1-line block ×5, first 2 shown]
	v_fma_f16 v30, v6, s16, v28
	v_add_f16_e32 v2, v5, v2
	v_pack_b32_f16 v5, v10, v18
	v_add_f16_e32 v36, v36, v40
	v_add_f16_e32 v33, v33, v37
	;; [unrolled: 1-line block ×5, first 2 shown]
	v_fma_f16 v28, v6, s16, -v28
	v_fma_f16 v31, v6, s7, v7
	ds_write2_b32 v1, v26, v5 offset1:13
	v_pack_b32_f16 v5, v16, v19
	v_pack_b32_f16 v6, v17, v21
	v_add_f16_e32 v32, v32, v36
	v_add_f16_e32 v29, v29, v33
	;; [unrolled: 1-line block ×3, first 2 shown]
	ds_write2_b32 v1, v5, v6 offset0:26 offset1:39
	v_pack_b32_f16 v5, v22, v25
	v_pack_b32_f16 v6, v27, v30
	v_add_f16_e32 v28, v28, v32
	ds_write2_b32 v1, v5, v6 offset0:52 offset1:65
	v_pack_b32_f16 v5, v29, v31
	v_pack_b32_f16 v2, v4, v2
	ds_write2_b32 v1, v5, v2 offset0:78 offset1:91
	v_pack_b32_f16 v2, v24, v28
	v_pack_b32_f16 v4, v20, v23
	;; [unrolled: 3-line block ×3, first 2 shown]
	ds_write2_b32 v1, v2, v4 offset0:130 offset1:143
	v_pack_b32_f16 v2, v9, v11
	ds_write_b32 v1, v2 offset:624
	v_mul_u32_u24_e32 v1, 0x1556, v0
	v_lshrrev_b32_e32 v6, 16, v1
	v_mul_lo_u16_e32 v1, 12, v6
	v_sub_u16_e32 v7, v0, v1
	v_mad_u64_u32 v[0:1], s[4:5], s12, v7, 0
	v_mov_b32_e32 v2, v1
	v_mad_u64_u32 v[4:5], s[4:5], s13, v7, v[2:3]
	v_mov_b32_e32 v1, v4
	v_mul_lo_u16_e32 v4, 0xa9, v7
	s_add_u32 s4, s10, s2
	v_mul_lo_u32 v2, s15, v6
	v_lshlrev_b32_e32 v7, 2, v4
	v_lshlrev_b32_e32 v6, 2, v6
	s_addc_u32 s5, s11, s3
	s_lshl_b64 s[2:3], s[20:21], 2
	v_add3_u32 v4, 0, v7, v6
	s_add_u32 s2, s4, s2
	s_waitcnt lgkmcnt(0)
	s_barrier
	ds_read_b32 v8, v4
	s_addc_u32 s3, s5, s3
	s_lshl_b64 s[0:1], s[0:1], 2
	v_add3_u32 v10, 0, v6, v7
	s_add_u32 s0, s2, s0
	ds_read2_b32 v[6:7], v10 offset0:13 offset1:26
	s_addc_u32 s1, s3, s1
	v_lshl_add_u64 v[0:1], v[0:1], 2, s[0:1]
	s_mul_i32 s15, s15, 13
	v_lshl_add_u64 v[4:5], v[2:3], 2, v[0:1]
	v_add_u32_e32 v2, s15, v2
	s_waitcnt lgkmcnt(1)
	global_store_dword v[4:5], v8, off
	v_lshl_add_u64 v[4:5], v[2:3], 2, v[0:1]
	s_waitcnt lgkmcnt(0)
	global_store_dword v[4:5], v6, off
	ds_read2_b32 v[4:5], v10 offset0:39 offset1:52
	v_add_u32_e32 v2, s15, v2
	v_lshl_add_u64 v[8:9], v[2:3], 2, v[0:1]
	v_add_u32_e32 v2, s15, v2
	global_store_dword v[8:9], v7, off
	v_lshl_add_u64 v[6:7], v[2:3], 2, v[0:1]
	s_waitcnt lgkmcnt(0)
	global_store_dword v[6:7], v4, off
	ds_read2_b32 v[6:7], v10 offset0:65 offset1:78
	v_add_u32_e32 v2, s15, v2
	v_lshl_add_u64 v[8:9], v[2:3], 2, v[0:1]
	v_add_u32_e32 v2, s15, v2
	global_store_dword v[8:9], v5, off
	v_lshl_add_u64 v[4:5], v[2:3], 2, v[0:1]
	s_waitcnt lgkmcnt(0)
	global_store_dword v[4:5], v6, off
	ds_read2_b32 v[4:5], v10 offset0:91 offset1:104
	v_add_u32_e32 v2, s15, v2
	v_lshl_add_u64 v[8:9], v[2:3], 2, v[0:1]
	v_add_u32_e32 v2, s15, v2
	global_store_dword v[8:9], v7, off
	v_lshl_add_u64 v[6:7], v[2:3], 2, v[0:1]
	s_waitcnt lgkmcnt(0)
	global_store_dword v[6:7], v4, off
	ds_read2_b32 v[6:7], v10 offset0:117 offset1:130
	v_add_u32_e32 v2, s15, v2
	v_lshl_add_u64 v[8:9], v[2:3], 2, v[0:1]
	v_add_u32_e32 v2, s15, v2
	global_store_dword v[8:9], v5, off
	v_lshl_add_u64 v[4:5], v[2:3], 2, v[0:1]
	s_waitcnt lgkmcnt(0)
	global_store_dword v[4:5], v6, off
	ds_read2_b32 v[4:5], v10 offset0:143 offset1:156
	v_add_u32_e32 v2, s15, v2
	v_lshl_add_u64 v[8:9], v[2:3], 2, v[0:1]
	v_add_u32_e32 v2, s15, v2
	global_store_dword v[8:9], v7, off
	v_lshl_add_u64 v[6:7], v[2:3], 2, v[0:1]
	v_add_u32_e32 v2, s15, v2
	v_lshl_add_u64 v[0:1], v[2:3], 2, v[0:1]
	s_waitcnt lgkmcnt(0)
	global_store_dword v[6:7], v4, off
	global_store_dword v[0:1], v5, off
	s_endpgm
	.section	.rodata,"a",@progbits
	.p2align	6, 0x0
	.amdhsa_kernel fft_rtc_fwd_len169_factors_13_13_wgs_156_tpt_13_half_op_CI_CI_sbrc_z_xy_aligned
		.amdhsa_group_segment_fixed_size 0
		.amdhsa_private_segment_fixed_size 0
		.amdhsa_kernarg_size 104
		.amdhsa_user_sgpr_count 2
		.amdhsa_user_sgpr_dispatch_ptr 0
		.amdhsa_user_sgpr_queue_ptr 0
		.amdhsa_user_sgpr_kernarg_segment_ptr 1
		.amdhsa_user_sgpr_dispatch_id 0
		.amdhsa_user_sgpr_kernarg_preload_length 0
		.amdhsa_user_sgpr_kernarg_preload_offset 0
		.amdhsa_user_sgpr_private_segment_size 0
		.amdhsa_uses_dynamic_stack 0
		.amdhsa_enable_private_segment 0
		.amdhsa_system_sgpr_workgroup_id_x 1
		.amdhsa_system_sgpr_workgroup_id_y 0
		.amdhsa_system_sgpr_workgroup_id_z 0
		.amdhsa_system_sgpr_workgroup_info 0
		.amdhsa_system_vgpr_workitem_id 0
		.amdhsa_next_free_vgpr 51
		.amdhsa_next_free_sgpr 28
		.amdhsa_accum_offset 52
		.amdhsa_reserve_vcc 0
		.amdhsa_float_round_mode_32 0
		.amdhsa_float_round_mode_16_64 0
		.amdhsa_float_denorm_mode_32 3
		.amdhsa_float_denorm_mode_16_64 3
		.amdhsa_dx10_clamp 1
		.amdhsa_ieee_mode 1
		.amdhsa_fp16_overflow 0
		.amdhsa_tg_split 0
		.amdhsa_exception_fp_ieee_invalid_op 0
		.amdhsa_exception_fp_denorm_src 0
		.amdhsa_exception_fp_ieee_div_zero 0
		.amdhsa_exception_fp_ieee_overflow 0
		.amdhsa_exception_fp_ieee_underflow 0
		.amdhsa_exception_fp_ieee_inexact 0
		.amdhsa_exception_int_div_zero 0
	.end_amdhsa_kernel
	.text
.Lfunc_end0:
	.size	fft_rtc_fwd_len169_factors_13_13_wgs_156_tpt_13_half_op_CI_CI_sbrc_z_xy_aligned, .Lfunc_end0-fft_rtc_fwd_len169_factors_13_13_wgs_156_tpt_13_half_op_CI_CI_sbrc_z_xy_aligned
                                        ; -- End function
	.section	.AMDGPU.csdata,"",@progbits
; Kernel info:
; codeLenInByte = 8496
; NumSgprs: 34
; NumVgprs: 51
; NumAgprs: 0
; TotalNumVgprs: 51
; ScratchSize: 0
; MemoryBound: 0
; FloatMode: 240
; IeeeMode: 1
; LDSByteSize: 0 bytes/workgroup (compile time only)
; SGPRBlocks: 4
; VGPRBlocks: 6
; NumSGPRsForWavesPerEU: 34
; NumVGPRsForWavesPerEU: 51
; AccumOffset: 52
; Occupancy: 8
; WaveLimiterHint : 1
; COMPUTE_PGM_RSRC2:SCRATCH_EN: 0
; COMPUTE_PGM_RSRC2:USER_SGPR: 2
; COMPUTE_PGM_RSRC2:TRAP_HANDLER: 0
; COMPUTE_PGM_RSRC2:TGID_X_EN: 1
; COMPUTE_PGM_RSRC2:TGID_Y_EN: 0
; COMPUTE_PGM_RSRC2:TGID_Z_EN: 0
; COMPUTE_PGM_RSRC2:TIDIG_COMP_CNT: 0
; COMPUTE_PGM_RSRC3_GFX90A:ACCUM_OFFSET: 12
; COMPUTE_PGM_RSRC3_GFX90A:TG_SPLIT: 0
	.text
	.p2alignl 6, 3212836864
	.fill 256, 4, 3212836864
	.type	__hip_cuid_b9db786383951d33,@object ; @__hip_cuid_b9db786383951d33
	.section	.bss,"aw",@nobits
	.globl	__hip_cuid_b9db786383951d33
__hip_cuid_b9db786383951d33:
	.byte	0                               ; 0x0
	.size	__hip_cuid_b9db786383951d33, 1

	.ident	"AMD clang version 19.0.0git (https://github.com/RadeonOpenCompute/llvm-project roc-6.4.0 25133 c7fe45cf4b819c5991fe208aaa96edf142730f1d)"
	.section	".note.GNU-stack","",@progbits
	.addrsig
	.addrsig_sym __hip_cuid_b9db786383951d33
	.amdgpu_metadata
---
amdhsa.kernels:
  - .agpr_count:     0
    .args:
      - .actual_access:  read_only
        .address_space:  global
        .offset:         0
        .size:           8
        .value_kind:     global_buffer
      - .offset:         8
        .size:           8
        .value_kind:     by_value
      - .actual_access:  read_only
        .address_space:  global
        .offset:         16
        .size:           8
        .value_kind:     global_buffer
      - .actual_access:  read_only
        .address_space:  global
        .offset:         24
        .size:           8
        .value_kind:     global_buffer
      - .actual_access:  read_only
        .address_space:  global
        .offset:         32
        .size:           8
        .value_kind:     global_buffer
      - .offset:         40
        .size:           8
        .value_kind:     by_value
      - .actual_access:  read_only
        .address_space:  global
        .offset:         48
        .size:           8
        .value_kind:     global_buffer
      - .actual_access:  read_only
        .address_space:  global
        .offset:         56
        .size:           8
        .value_kind:     global_buffer
      - .offset:         64
        .size:           4
        .value_kind:     by_value
      - .actual_access:  read_only
        .address_space:  global
        .offset:         72
        .size:           8
        .value_kind:     global_buffer
      - .actual_access:  read_only
        .address_space:  global
        .offset:         80
        .size:           8
        .value_kind:     global_buffer
      - .actual_access:  read_only
        .address_space:  global
        .offset:         88
        .size:           8
        .value_kind:     global_buffer
      - .actual_access:  write_only
        .address_space:  global
        .offset:         96
        .size:           8
        .value_kind:     global_buffer
    .group_segment_fixed_size: 0
    .kernarg_segment_align: 8
    .kernarg_segment_size: 104
    .language:       OpenCL C
    .language_version:
      - 2
      - 0
    .max_flat_workgroup_size: 156
    .name:           fft_rtc_fwd_len169_factors_13_13_wgs_156_tpt_13_half_op_CI_CI_sbrc_z_xy_aligned
    .private_segment_fixed_size: 0
    .sgpr_count:     34
    .sgpr_spill_count: 0
    .symbol:         fft_rtc_fwd_len169_factors_13_13_wgs_156_tpt_13_half_op_CI_CI_sbrc_z_xy_aligned.kd
    .uniform_work_group_size: 1
    .uses_dynamic_stack: false
    .vgpr_count:     51
    .vgpr_spill_count: 0
    .wavefront_size: 64
amdhsa.target:   amdgcn-amd-amdhsa--gfx950
amdhsa.version:
  - 1
  - 2
...

	.end_amdgpu_metadata
